;; amdgpu-corpus repo=ROCm/rocFFT kind=compiled arch=gfx950 opt=O3
	.text
	.amdgcn_target "amdgcn-amd-amdhsa--gfx950"
	.amdhsa_code_object_version 6
	.protected	fft_rtc_fwd_len352_factors_11_2_16_wgs_64_tpt_32_dp_op_CI_CI_unitstride_sbrr_C2R_dirReg ; -- Begin function fft_rtc_fwd_len352_factors_11_2_16_wgs_64_tpt_32_dp_op_CI_CI_unitstride_sbrr_C2R_dirReg
	.globl	fft_rtc_fwd_len352_factors_11_2_16_wgs_64_tpt_32_dp_op_CI_CI_unitstride_sbrr_C2R_dirReg
	.p2align	8
	.type	fft_rtc_fwd_len352_factors_11_2_16_wgs_64_tpt_32_dp_op_CI_CI_unitstride_sbrr_C2R_dirReg,@function
fft_rtc_fwd_len352_factors_11_2_16_wgs_64_tpt_32_dp_op_CI_CI_unitstride_sbrr_C2R_dirReg: ; @fft_rtc_fwd_len352_factors_11_2_16_wgs_64_tpt_32_dp_op_CI_CI_unitstride_sbrr_C2R_dirReg
; %bb.0:
	s_load_dwordx4 s[4:7], s[0:1], 0x58
	s_load_dwordx4 s[8:11], s[0:1], 0x0
	;; [unrolled: 1-line block ×3, first 2 shown]
	v_lshrrev_b32_e32 v1, 5, v0
	v_lshl_or_b32 v6, s2, 1, v1
	v_mov_b32_e32 v4, 0
	s_waitcnt lgkmcnt(0)
	v_cmp_lt_u64_e64 s[2:3], s[10:11], 2
	v_mov_b32_e32 v7, v4
	s_and_b64 vcc, exec, s[2:3]
	v_mov_b64_e32 v[2:3], 0
	s_cbranch_vccnz .LBB0_8
; %bb.1:
	s_load_dwordx2 s[2:3], s[0:1], 0x10
	s_add_u32 s16, s14, 8
	s_addc_u32 s17, s15, 0
	s_add_u32 s18, s12, 8
	s_addc_u32 s19, s13, 0
	s_waitcnt lgkmcnt(0)
	s_add_u32 s20, s2, 8
	v_mov_b64_e32 v[2:3], 0
	s_addc_u32 s21, s3, 0
	s_mov_b64 s[22:23], 1
	v_mov_b64_e32 v[64:65], v[2:3]
.LBB0_2:                                ; =>This Inner Loop Header: Depth=1
	s_load_dwordx2 s[24:25], s[20:21], 0x0
                                        ; implicit-def: $vgpr66_vgpr67
	s_waitcnt lgkmcnt(0)
	v_or_b32_e32 v5, s25, v7
	v_cmp_ne_u64_e32 vcc, 0, v[4:5]
	s_and_saveexec_b64 s[2:3], vcc
	s_xor_b64 s[26:27], exec, s[2:3]
	s_cbranch_execz .LBB0_4
; %bb.3:                                ;   in Loop: Header=BB0_2 Depth=1
	v_cvt_f32_u32_e32 v1, s24
	v_cvt_f32_u32_e32 v5, s25
	s_sub_u32 s2, 0, s24
	s_subb_u32 s3, 0, s25
	v_fmac_f32_e32 v1, 0x4f800000, v5
	v_rcp_f32_e32 v1, v1
	s_nop 0
	v_mul_f32_e32 v1, 0x5f7ffffc, v1
	v_mul_f32_e32 v5, 0x2f800000, v1
	v_trunc_f32_e32 v5, v5
	v_fmac_f32_e32 v1, 0xcf800000, v5
	v_cvt_u32_f32_e32 v5, v5
	v_cvt_u32_f32_e32 v1, v1
	v_mul_lo_u32 v8, s2, v5
	v_mul_hi_u32 v10, s2, v1
	v_mul_lo_u32 v9, s3, v1
	v_add_u32_e32 v10, v10, v8
	v_mul_lo_u32 v12, s2, v1
	v_add_u32_e32 v13, v10, v9
	v_mul_hi_u32 v8, v1, v12
	v_mul_hi_u32 v11, v1, v13
	v_mul_lo_u32 v10, v1, v13
	v_mov_b32_e32 v9, v4
	v_lshl_add_u64 v[8:9], v[8:9], 0, v[10:11]
	v_mul_hi_u32 v11, v5, v12
	v_mul_lo_u32 v12, v5, v12
	v_add_co_u32_e32 v8, vcc, v8, v12
	v_mul_hi_u32 v10, v5, v13
	s_nop 0
	v_addc_co_u32_e32 v8, vcc, v9, v11, vcc
	v_mov_b32_e32 v9, v4
	s_nop 0
	v_addc_co_u32_e32 v11, vcc, 0, v10, vcc
	v_mul_lo_u32 v10, v5, v13
	v_lshl_add_u64 v[8:9], v[8:9], 0, v[10:11]
	v_add_co_u32_e32 v1, vcc, v1, v8
	v_mul_lo_u32 v10, s2, v1
	s_nop 0
	v_addc_co_u32_e32 v5, vcc, v5, v9, vcc
	v_mul_lo_u32 v8, s2, v5
	v_mul_hi_u32 v9, s2, v1
	v_add_u32_e32 v8, v9, v8
	v_mul_lo_u32 v9, s3, v1
	v_add_u32_e32 v12, v8, v9
	v_mul_hi_u32 v14, v5, v10
	v_mul_lo_u32 v15, v5, v10
	v_mul_hi_u32 v9, v1, v12
	v_mul_lo_u32 v8, v1, v12
	v_mul_hi_u32 v10, v1, v10
	v_mov_b32_e32 v11, v4
	v_lshl_add_u64 v[8:9], v[10:11], 0, v[8:9]
	v_add_co_u32_e32 v8, vcc, v8, v15
	v_mul_hi_u32 v13, v5, v12
	s_nop 0
	v_addc_co_u32_e32 v8, vcc, v9, v14, vcc
	v_mul_lo_u32 v10, v5, v12
	s_nop 0
	v_addc_co_u32_e32 v11, vcc, 0, v13, vcc
	v_mov_b32_e32 v9, v4
	v_lshl_add_u64 v[8:9], v[8:9], 0, v[10:11]
	v_add_co_u32_e32 v1, vcc, v1, v8
	v_mul_hi_u32 v10, v6, v1
	s_nop 0
	v_addc_co_u32_e32 v5, vcc, v5, v9, vcc
	v_mad_u64_u32 v[8:9], s[2:3], v6, v5, 0
	v_mov_b32_e32 v11, v4
	v_lshl_add_u64 v[8:9], v[10:11], 0, v[8:9]
	v_mad_u64_u32 v[12:13], s[2:3], v7, v1, 0
	v_add_co_u32_e32 v1, vcc, v8, v12
	v_mad_u64_u32 v[10:11], s[2:3], v7, v5, 0
	s_nop 0
	v_addc_co_u32_e32 v8, vcc, v9, v13, vcc
	v_mov_b32_e32 v9, v4
	s_nop 0
	v_addc_co_u32_e32 v11, vcc, 0, v11, vcc
	v_lshl_add_u64 v[8:9], v[8:9], 0, v[10:11]
	v_mul_lo_u32 v1, s25, v8
	v_mul_lo_u32 v5, s24, v9
	v_mad_u64_u32 v[10:11], s[2:3], s24, v8, 0
	v_add3_u32 v1, v11, v5, v1
	v_sub_u32_e32 v5, v7, v1
	v_mov_b32_e32 v11, s25
	v_sub_co_u32_e32 v14, vcc, v6, v10
	v_lshl_add_u64 v[12:13], v[8:9], 0, 1
	s_nop 0
	v_subb_co_u32_e64 v5, s[2:3], v5, v11, vcc
	v_subrev_co_u32_e64 v10, s[2:3], s24, v14
	v_subb_co_u32_e32 v1, vcc, v7, v1, vcc
	s_nop 0
	v_subbrev_co_u32_e64 v5, s[2:3], 0, v5, s[2:3]
	v_cmp_le_u32_e64 s[2:3], s25, v5
	v_cmp_le_u32_e32 vcc, s25, v1
	s_nop 0
	v_cndmask_b32_e64 v11, 0, -1, s[2:3]
	v_cmp_le_u32_e64 s[2:3], s24, v10
	s_nop 1
	v_cndmask_b32_e64 v10, 0, -1, s[2:3]
	v_cmp_eq_u32_e64 s[2:3], s25, v5
	s_nop 1
	v_cndmask_b32_e64 v5, v11, v10, s[2:3]
	v_lshl_add_u64 v[10:11], v[8:9], 0, 2
	v_cmp_ne_u32_e64 s[2:3], 0, v5
	s_nop 1
	v_cndmask_b32_e64 v5, v13, v11, s[2:3]
	v_cndmask_b32_e64 v11, 0, -1, vcc
	v_cmp_le_u32_e32 vcc, s24, v14
	s_nop 1
	v_cndmask_b32_e64 v13, 0, -1, vcc
	v_cmp_eq_u32_e32 vcc, s25, v1
	s_nop 1
	v_cndmask_b32_e32 v1, v11, v13, vcc
	v_cmp_ne_u32_e32 vcc, 0, v1
	v_cndmask_b32_e64 v1, v12, v10, s[2:3]
	s_nop 0
	v_cndmask_b32_e32 v67, v9, v5, vcc
	v_cndmask_b32_e32 v66, v8, v1, vcc
.LBB0_4:                                ;   in Loop: Header=BB0_2 Depth=1
	s_andn2_saveexec_b64 s[2:3], s[26:27]
	s_cbranch_execz .LBB0_6
; %bb.5:                                ;   in Loop: Header=BB0_2 Depth=1
	v_cvt_f32_u32_e32 v1, s24
	s_sub_i32 s26, 0, s24
	v_mov_b32_e32 v67, v4
	v_rcp_iflag_f32_e32 v1, v1
	s_nop 0
	v_mul_f32_e32 v1, 0x4f7ffffe, v1
	v_cvt_u32_f32_e32 v1, v1
	v_mul_lo_u32 v5, s26, v1
	v_mul_hi_u32 v5, v1, v5
	v_add_u32_e32 v1, v1, v5
	v_mul_hi_u32 v1, v6, v1
	v_mul_lo_u32 v5, v1, s24
	v_sub_u32_e32 v5, v6, v5
	v_add_u32_e32 v8, 1, v1
	v_subrev_u32_e32 v9, s24, v5
	v_cmp_le_u32_e32 vcc, s24, v5
	s_nop 1
	v_cndmask_b32_e32 v5, v5, v9, vcc
	v_cndmask_b32_e32 v1, v1, v8, vcc
	v_add_u32_e32 v8, 1, v1
	v_cmp_le_u32_e32 vcc, s24, v5
	s_nop 1
	v_cndmask_b32_e32 v66, v1, v8, vcc
.LBB0_6:                                ;   in Loop: Header=BB0_2 Depth=1
	s_or_b64 exec, exec, s[2:3]
	v_mad_u64_u32 v[8:9], s[2:3], v66, s24, 0
	s_load_dwordx2 s[2:3], s[18:19], 0x0
	v_mul_lo_u32 v1, v67, s24
	v_mul_lo_u32 v5, v66, s25
	s_load_dwordx2 s[24:25], s[16:17], 0x0
	s_add_u32 s22, s22, 1
	v_add3_u32 v1, v9, v5, v1
	v_sub_co_u32_e32 v5, vcc, v6, v8
	s_addc_u32 s23, s23, 0
	s_nop 0
	v_subb_co_u32_e32 v1, vcc, v7, v1, vcc
	s_add_u32 s16, s16, 8
	s_waitcnt lgkmcnt(0)
	v_mul_lo_u32 v6, s2, v1
	v_mul_lo_u32 v7, s3, v5
	v_mad_u64_u32 v[2:3], s[2:3], s2, v5, v[2:3]
	s_addc_u32 s17, s17, 0
	v_add3_u32 v3, v7, v3, v6
	v_mul_lo_u32 v1, s24, v1
	v_mul_lo_u32 v6, s25, v5
	v_mad_u64_u32 v[64:65], s[2:3], s24, v5, v[64:65]
	s_add_u32 s18, s18, 8
	v_add3_u32 v65, v6, v65, v1
	s_addc_u32 s19, s19, 0
	v_mov_b64_e32 v[6:7], s[10:11]
	s_add_u32 s20, s20, 8
	v_cmp_ge_u64_e32 vcc, s[22:23], v[6:7]
	s_addc_u32 s21, s21, 0
	s_cbranch_vccnz .LBB0_9
; %bb.7:                                ;   in Loop: Header=BB0_2 Depth=1
	v_mov_b64_e32 v[6:7], v[66:67]
	s_branch .LBB0_2
.LBB0_8:
	v_mov_b64_e32 v[64:65], v[2:3]
	v_mov_b64_e32 v[66:67], v[6:7]
.LBB0_9:
	s_load_dwordx2 s[2:3], s[0:1], 0x28
	s_lshl_b64 s[16:17], s[10:11], 3
	s_add_u32 s14, s14, s16
	v_and_b32_e32 v1, 32, v0
	s_addc_u32 s15, s15, s17
	v_cmp_ne_u32_e32 vcc, 0, v1
	v_mov_b32_e32 v1, 0x161
	s_waitcnt lgkmcnt(0)
	v_cmp_gt_u64_e64 s[0:1], s[2:3], v[66:67]
	v_cmp_le_u64_e64 s[2:3], s[2:3], v[66:67]
	v_and_b32_e32 v68, 31, v0
	s_and_saveexec_b64 s[10:11], s[2:3]
	s_xor_b64 s[2:3], exec, s[10:11]
; %bb.10:
	v_and_b32_e32 v68, 31, v0
                                        ; implicit-def: $vgpr2_vgpr3
; %bb.11:
	s_or_saveexec_b64 s[10:11], s[2:3]
	s_load_dwordx2 s[2:3], s[14:15], 0x0
	v_cndmask_b32_e32 v4, 0, v1, vcc
	v_lshlrev_b32_e32 v56, 4, v4
	s_xor_b64 exec, exec, s[10:11]
	s_cbranch_execz .LBB0_15
; %bb.12:
	s_add_u32 s12, s12, s16
	s_addc_u32 s13, s13, s17
	s_load_dwordx2 s[12:13], s[12:13], 0x0
	v_lshlrev_b32_e32 v46, 4, v68
	v_mov_b32_e32 v47, 0
	v_cmp_eq_u32_e32 vcc, 31, v68
	s_waitcnt lgkmcnt(0)
	v_mul_lo_u32 v5, s13, v66
	v_mul_lo_u32 v6, s12, v67
	v_mad_u64_u32 v[0:1], s[12:13], s12, v66, 0
	v_add3_u32 v1, v1, v6, v5
	v_lshl_add_u64 v[0:1], v[0:1], 4, s[4:5]
	v_lshl_add_u64 v[0:1], v[2:3], 4, v[0:1]
	;; [unrolled: 1-line block ×3, first 2 shown]
	global_load_dwordx4 v[6:9], v[38:39], off
	global_load_dwordx4 v[10:13], v[38:39], off offset:512
	global_load_dwordx4 v[14:17], v[38:39], off offset:1024
	;; [unrolled: 1-line block ×7, first 2 shown]
	v_or_b32_e32 v38, 0x1000, v46
	v_mov_b32_e32 v39, v47
	v_lshl_add_u64 v[48:49], v[0:1], 0, v[38:39]
	v_or_b32_e32 v38, 0x1200, v46
	v_lshl_add_u64 v[50:51], v[0:1], 0, v[38:39]
	global_load_dwordx4 v[38:41], v[48:49], off
	global_load_dwordx4 v[42:45], v[50:51], off
	v_add3_u32 v2, 0, v56, v46
	v_or_b32_e32 v46, 0x1400, v46
	v_lshl_add_u64 v[46:47], v[0:1], 0, v[46:47]
	global_load_dwordx4 v[46:49], v[46:47], off
	s_waitcnt vmcnt(10)
	ds_write_b128 v2, v[6:9]
	s_waitcnt vmcnt(9)
	ds_write_b128 v2, v[10:13] offset:512
	s_waitcnt vmcnt(8)
	ds_write_b128 v2, v[14:17] offset:1024
	;; [unrolled: 2-line block ×10, first 2 shown]
	s_and_saveexec_b64 s[4:5], vcc
	s_cbranch_execz .LBB0_14
; %bb.13:
	v_add_co_u32_e32 v0, vcc, 0x1000, v0
	v_mov_b32_e32 v68, 31
	s_nop 0
	v_addc_co_u32_e32 v1, vcc, 0, v1, vcc
	global_load_dwordx4 v[6:9], v[0:1], off offset:1536
	s_waitcnt vmcnt(0)
	ds_write_b128 v2, v[6:9] offset:5136
.LBB0_14:
	s_or_b64 exec, exec, s[4:5]
.LBB0_15:
	s_or_b64 exec, exec, s[10:11]
	v_lshl_add_u32 v70, v4, 4, 0
	v_lshlrev_b32_e32 v10, 4, v68
	v_add_u32_e32 v71, v70, v10
	s_waitcnt lgkmcnt(0)
	; wave barrier
	s_waitcnt lgkmcnt(0)
	v_sub_u32_e32 v11, v70, v10
	ds_read_b64 v[6:7], v71
	ds_read_b64 v[8:9], v11 offset:5632
	s_add_u32 s4, s8, 0x1550
	s_addc_u32 s5, s9, 0
	v_cmp_ne_u32_e32 vcc, 0, v68
                                        ; implicit-def: $vgpr4_vgpr5
	s_waitcnt lgkmcnt(0)
	v_add_f64 v[0:1], v[6:7], v[8:9]
	v_add_f64 v[2:3], v[6:7], -v[8:9]
	s_and_saveexec_b64 s[10:11], vcc
	s_xor_b64 s[10:11], exec, s[10:11]
	s_cbranch_execz .LBB0_17
; %bb.16:
	v_mov_b32_e32 v69, 0
	v_lshl_add_u64 v[0:1], v[68:69], 4, s[4:5]
	global_load_dwordx4 v[12:15], v[0:1], off
	ds_read_b64 v[0:1], v11 offset:5640
	ds_read_b64 v[2:3], v71 offset:8
	v_add_f64 v[4:5], v[6:7], v[8:9]
	v_add_f64 v[8:9], v[6:7], -v[8:9]
	s_waitcnt lgkmcnt(0)
	v_add_f64 v[16:17], v[0:1], v[2:3]
	v_add_f64 v[0:1], v[2:3], -v[0:1]
	s_waitcnt vmcnt(0)
	v_fma_f64 v[18:19], v[8:9], v[14:15], v[4:5]
	v_fma_f64 v[4:5], -v[8:9], v[14:15], v[4:5]
	v_fma_f64 v[6:7], v[16:17], v[14:15], -v[0:1]
	v_fma_f64 v[2:3], v[16:17], v[14:15], v[0:1]
	v_fmac_f64_e32 v[4:5], v[16:17], v[12:13]
	v_fmac_f64_e32 v[6:7], v[8:9], v[12:13]
	v_fma_f64 v[0:1], -v[16:17], v[12:13], v[18:19]
	v_fmac_f64_e32 v[2:3], v[8:9], v[12:13]
	ds_write_b128 v11, v[4:7] offset:5632
	v_mov_b64_e32 v[4:5], v[68:69]
.LBB0_17:
	s_andn2_saveexec_b64 s[10:11], s[10:11]
	s_cbranch_execz .LBB0_19
; %bb.18:
	ds_read_b128 v[4:7], v70 offset:2816
	s_waitcnt lgkmcnt(0)
	v_add_f64 v[4:5], v[4:5], v[4:5]
	v_mul_f64 v[6:7], v[6:7], -2.0
	ds_write_b128 v70, v[4:7] offset:2816
	v_mov_b64_e32 v[4:5], 0
.LBB0_19:
	s_or_b64 exec, exec, s[10:11]
	v_lshl_add_u64 v[4:5], v[4:5], 4, s[4:5]
	global_load_dwordx4 v[6:9], v[4:5], off offset:512
	global_load_dwordx4 v[12:15], v[4:5], off offset:1024
	;; [unrolled: 1-line block ×4, first 2 shown]
	ds_write_b128 v71, v[0:3]
	ds_read_b128 v[0:3], v71 offset:512
	ds_read_b128 v[24:27], v11 offset:5120
	v_or_b32_e32 v57, 0xa0, v68
	s_movk_i32 s4, 0xb0
	s_movk_i32 s30, 0xa0
	v_cmp_gt_u32_e32 vcc, s4, v57
	s_waitcnt lgkmcnt(0)
	v_add_f64 v[28:29], v[0:1], v[24:25]
	v_add_f64 v[30:31], v[26:27], v[2:3]
	v_add_f64 v[32:33], v[0:1], -v[24:25]
	v_add_f64 v[0:1], v[2:3], -v[26:27]
	s_waitcnt vmcnt(3)
	v_fma_f64 v[34:35], v[32:33], v[8:9], v[28:29]
	v_fma_f64 v[2:3], v[30:31], v[8:9], v[0:1]
	v_fma_f64 v[24:25], -v[32:33], v[8:9], v[28:29]
	v_fma_f64 v[26:27], v[30:31], v[8:9], -v[0:1]
	v_fma_f64 v[0:1], -v[30:31], v[6:7], v[34:35]
	v_fmac_f64_e32 v[2:3], v[32:33], v[6:7]
	v_fmac_f64_e32 v[24:25], v[30:31], v[6:7]
	v_fmac_f64_e32 v[26:27], v[32:33], v[6:7]
	ds_write_b128 v71, v[0:3] offset:512
	ds_write_b128 v11, v[24:27] offset:5120
	ds_read_b128 v[0:3], v71 offset:1024
	ds_read_b128 v[6:9], v11 offset:4608
	s_waitcnt lgkmcnt(0)
	v_add_f64 v[24:25], v[0:1], v[6:7]
	v_add_f64 v[26:27], v[8:9], v[2:3]
	v_add_f64 v[28:29], v[0:1], -v[6:7]
	v_add_f64 v[0:1], v[2:3], -v[8:9]
	s_waitcnt vmcnt(2)
	v_fma_f64 v[30:31], v[28:29], v[14:15], v[24:25]
	v_fma_f64 v[2:3], v[26:27], v[14:15], v[0:1]
	v_fma_f64 v[6:7], -v[28:29], v[14:15], v[24:25]
	v_fma_f64 v[8:9], v[26:27], v[14:15], -v[0:1]
	v_fma_f64 v[0:1], -v[26:27], v[12:13], v[30:31]
	v_fmac_f64_e32 v[2:3], v[28:29], v[12:13]
	v_fmac_f64_e32 v[6:7], v[26:27], v[12:13]
	v_fmac_f64_e32 v[8:9], v[28:29], v[12:13]
	ds_write_b128 v71, v[0:3] offset:1024
	ds_write_b128 v11, v[6:9] offset:4608
	ds_read_b128 v[0:3], v71 offset:1536
	ds_read_b128 v[6:9], v11 offset:4096
	;; [unrolled: 18-line block ×3, first 2 shown]
	s_waitcnt lgkmcnt(0)
	v_add_f64 v[12:13], v[0:1], v[6:7]
	v_add_f64 v[14:15], v[8:9], v[2:3]
	v_add_f64 v[16:17], v[0:1], -v[6:7]
	v_add_f64 v[0:1], v[2:3], -v[8:9]
	s_waitcnt vmcnt(0)
	v_fma_f64 v[18:19], v[16:17], v[22:23], v[12:13]
	v_fma_f64 v[2:3], v[14:15], v[22:23], v[0:1]
	v_fma_f64 v[6:7], -v[16:17], v[22:23], v[12:13]
	v_fma_f64 v[8:9], v[14:15], v[22:23], -v[0:1]
	v_fma_f64 v[0:1], -v[14:15], v[20:21], v[18:19]
	v_fmac_f64_e32 v[2:3], v[16:17], v[20:21]
	v_fmac_f64_e32 v[6:7], v[14:15], v[20:21]
	v_fmac_f64_e32 v[8:9], v[16:17], v[20:21]
	ds_write_b128 v71, v[0:3] offset:2048
	ds_write_b128 v11, v[6:9] offset:3584
	s_and_saveexec_b64 s[4:5], vcc
	s_cbranch_execz .LBB0_21
; %bb.20:
	global_load_dwordx4 v[0:3], v[4:5], off offset:2560
	ds_read_b128 v[4:7], v71 offset:2560
	ds_read_b128 v[12:15], v11 offset:3072
	s_waitcnt lgkmcnt(0)
	v_add_f64 v[8:9], v[4:5], v[12:13]
	v_add_f64 v[16:17], v[14:15], v[6:7]
	v_add_f64 v[12:13], v[4:5], -v[12:13]
	v_add_f64 v[14:15], v[6:7], -v[14:15]
	s_waitcnt vmcnt(0)
	v_fma_f64 v[18:19], v[12:13], v[2:3], v[8:9]
	v_fma_f64 v[4:5], v[16:17], v[2:3], v[14:15]
	v_fma_f64 v[6:7], -v[12:13], v[2:3], v[8:9]
	v_fma_f64 v[8:9], v[16:17], v[2:3], -v[14:15]
	v_fma_f64 v[2:3], -v[16:17], v[0:1], v[18:19]
	v_fmac_f64_e32 v[4:5], v[12:13], v[0:1]
	v_fmac_f64_e32 v[6:7], v[16:17], v[0:1]
	;; [unrolled: 1-line block ×3, first 2 shown]
	ds_write_b128 v71, v[2:5] offset:2560
	ds_write_b128 v11, v[6:9] offset:3072
.LBB0_21:
	s_or_b64 exec, exec, s[4:5]
	s_waitcnt lgkmcnt(0)
	; wave barrier
	s_waitcnt lgkmcnt(0)
	s_waitcnt lgkmcnt(0)
	; wave barrier
	s_waitcnt lgkmcnt(0)
	v_add3_u32 v69, 0, v10, v56
	ds_read_b128 v[4:7], v71
	ds_read_b128 v[28:31], v69 offset:512
	ds_read_b128 v[32:35], v69 offset:1024
	;; [unrolled: 1-line block ×10, first 2 shown]
	s_waitcnt lgkmcnt(9)
	v_add_f64 v[0:1], v[4:5], v[28:29]
	s_waitcnt lgkmcnt(8)
	v_add_f64 v[0:1], v[0:1], v[32:33]
	v_add_f64 v[2:3], v[6:7], v[30:31]
	s_waitcnt lgkmcnt(7)
	v_add_f64 v[0:1], v[0:1], v[24:25]
	;; [unrolled: 3-line block ×8, first 2 shown]
	s_mov_b32 s4, 0xf8bb580b
	s_mov_b32 s18, 0x43842ef
	;; [unrolled: 1-line block ×4, first 2 shown]
	v_add_f64 v[2:3], v[2:3], v[42:43]
	s_waitcnt lgkmcnt(0)
	v_add_f64 v[0:1], v[0:1], v[50:51]
	v_add_f64 v[48:49], v[28:29], v[50:51]
	v_add_f64 v[46:47], v[28:29], -v[50:51]
	v_add_f64 v[50:51], v[30:31], -v[52:53]
	s_mov_b32 s5, 0xbfe14ced
	s_mov_b32 s14, 0x8764f0ba
	;; [unrolled: 1-line block ×11, first 2 shown]
	v_add_f64 v[2:3], v[2:3], v[38:39]
	v_add_f64 v[44:45], v[30:31], v[52:53]
	;; [unrolled: 1-line block ×3, first 2 shown]
	v_add_f64 v[32:33], v[32:33], -v[36:37]
	v_add_f64 v[36:37], v[26:27], v[42:43]
	v_add_f64 v[26:27], v[26:27], -v[42:43]
	v_add_f64 v[42:43], v[16:17], v[20:21]
	;; [unrolled: 2-line block ×3, first 2 shown]
	v_add_f64 v[8:9], v[8:9], -v[12:13]
	v_mul_f64 v[12:13], v[50:51], s[4:5]
	s_mov_b32 s15, 0x3feaeb8c
	v_mul_f64 v[20:21], v[50:51], s[20:21]
	s_mov_b32 s13, 0x3fda9628
	s_mov_b32 s11, 0xbfc2375f
	v_mul_f64 v[58:59], v[50:51], s[18:19]
	s_mov_b32 s17, 0xbfe4f49e
	v_mul_f64 v[62:63], v[50:51], s[22:23]
	v_mul_f64 v[50:51], v[50:51], s[26:27]
	s_mov_b32 s25, 0xbfeeb42a
	v_add_f64 v[2:3], v[2:3], v[52:53]
	v_add_f64 v[28:29], v[34:35], v[38:39]
	v_add_f64 v[34:35], v[34:35], -v[38:39]
	v_add_f64 v[38:39], v[24:25], v[40:41]
	v_add_f64 v[24:25], v[24:25], -v[40:41]
	;; [unrolled: 2-line block ×4, first 2 shown]
	v_fma_f64 v[14:15], v[48:49], s[14:15], -v[12:13]
	v_fmac_f64_e32 v[12:13], s[14:15], v[48:49]
	v_fma_f64 v[22:23], v[48:49], s[12:13], -v[20:21]
	v_fmac_f64_e32 v[20:21], s[12:13], v[48:49]
	;; [unrolled: 2-line block ×5, first 2 shown]
	v_mul_f64 v[48:49], v[46:47], s[4:5]
	v_fma_f64 v[76:77], s[14:15], v[44:45], v[48:49]
	v_mul_f64 v[78:79], v[46:47], s[20:21]
	v_mul_f64 v[82:83], v[46:47], s[18:19]
	;; [unrolled: 1-line block ×4, first 2 shown]
	v_add_f64 v[92:93], v[4:5], v[20:21]
	v_mul_f64 v[20:21], v[34:35], s[20:21]
	v_fma_f64 v[48:49], v[44:45], s[14:15], -v[48:49]
	v_fma_f64 v[80:81], s[12:13], v[44:45], v[78:79]
	v_fma_f64 v[78:79], v[44:45], s[12:13], -v[78:79]
	v_fma_f64 v[84:85], s[10:11], v[44:45], v[82:83]
	;; [unrolled: 2-line block ×4, first 2 shown]
	v_fma_f64 v[44:45], v[44:45], s[24:25], -v[46:47]
	v_add_f64 v[14:15], v[4:5], v[14:15]
	v_add_f64 v[46:47], v[6:7], v[76:77]
	;; [unrolled: 1-line block ×10, first 2 shown]
	v_fma_f64 v[4:5], v[30:31], s[12:13], -v[20:21]
	v_mul_f64 v[22:23], v[26:27], s[18:19]
	v_add_f64 v[98:99], v[6:7], v[44:45]
	v_add_f64 v[4:5], v[4:5], v[14:15]
	v_mul_f64 v[14:15], v[32:33], s[20:21]
	v_fma_f64 v[44:45], v[38:39], s[10:11], -v[22:23]
	v_add_f64 v[48:49], v[6:7], v[48:49]
	v_add_f64 v[80:81], v[6:7], v[80:81]
	;; [unrolled: 1-line block ×8, first 2 shown]
	v_fma_f64 v[6:7], s[12:13], v[28:29], v[14:15]
	v_add_f64 v[4:5], v[44:45], v[4:5]
	v_mul_f64 v[44:45], v[24:25], s[18:19]
	v_add_f64 v[6:7], v[6:7], v[46:47]
	v_fma_f64 v[46:47], s[10:11], v[36:37], v[44:45]
	v_add_f64 v[6:7], v[46:47], v[6:7]
	v_mul_f64 v[46:47], v[18:19], s[22:23]
	v_fma_f64 v[50:51], v[42:43], s[16:17], -v[46:47]
	v_add_f64 v[4:5], v[50:51], v[4:5]
	v_mul_f64 v[50:51], v[16:17], s[22:23]
	v_fma_f64 v[74:75], s[16:17], v[40:41], v[50:51]
	v_fmac_f64_e32 v[20:21], s[12:13], v[30:31]
	v_add_f64 v[6:7], v[74:75], v[6:7]
	v_mul_f64 v[74:75], v[10:11], s[26:27]
	v_add_f64 v[12:13], v[20:21], v[12:13]
	v_fma_f64 v[14:15], v[28:29], s[12:13], -v[14:15]
	v_fmac_f64_e32 v[22:23], s[10:11], v[38:39]
	v_fma_f64 v[100:101], v[54:55], s[24:25], -v[74:75]
	v_add_f64 v[14:15], v[14:15], v[48:49]
	v_add_f64 v[12:13], v[22:23], v[12:13]
	v_fma_f64 v[20:21], v[36:37], s[10:11], -v[44:45]
	v_fmac_f64_e32 v[46:47], s[16:17], v[42:43]
	v_add_f64 v[4:5], v[100:101], v[4:5]
	v_mul_f64 v[100:101], v[8:9], s[26:27]
	v_add_f64 v[14:15], v[20:21], v[14:15]
	v_add_f64 v[12:13], v[46:47], v[12:13]
	v_fma_f64 v[20:21], v[40:41], s[16:17], -v[50:51]
	v_fmac_f64_e32 v[74:75], s[24:25], v[54:55]
	v_add_f64 v[14:15], v[20:21], v[14:15]
	v_add_f64 v[20:21], v[74:75], v[12:13]
	v_fma_f64 v[12:13], v[52:53], s[24:25], -v[100:101]
	v_mul_f64 v[44:45], v[34:35], s[22:23]
	s_mov_b32 s35, 0x3fd207e7
	s_mov_b32 s34, s26
	v_add_f64 v[22:23], v[12:13], v[14:15]
	v_fma_f64 v[12:13], v[30:31], s[16:17], -v[44:45]
	v_mul_f64 v[48:49], v[26:27], s[34:35]
	v_add_f64 v[12:13], v[12:13], v[76:77]
	v_mul_f64 v[46:47], v[32:33], s[22:23]
	v_fma_f64 v[50:51], v[38:39], s[24:25], -v[48:49]
	v_fma_f64 v[14:15], s[16:17], v[28:29], v[46:47]
	v_add_f64 v[12:13], v[50:51], v[12:13]
	v_mul_f64 v[50:51], v[24:25], s[34:35]
	v_add_f64 v[14:15], v[14:15], v[80:81]
	v_fma_f64 v[74:75], s[24:25], v[36:37], v[50:51]
	s_mov_b32 s37, 0x3fefac9e
	s_mov_b32 s36, s18
	v_add_f64 v[14:15], v[74:75], v[14:15]
	v_mul_f64 v[74:75], v[18:19], s[36:37]
	v_fma_f64 v[76:77], v[42:43], s[10:11], -v[74:75]
	v_add_f64 v[12:13], v[76:77], v[12:13]
	v_mul_f64 v[76:77], v[16:17], s[36:37]
	v_fma_f64 v[80:81], s[10:11], v[40:41], v[76:77]
	s_mov_b32 s29, 0x3fe14ced
	s_mov_b32 s28, s4
	v_fmac_f64_e32 v[44:45], s[16:17], v[30:31]
	v_add_f64 v[14:15], v[80:81], v[14:15]
	v_mul_f64 v[80:81], v[10:11], s[28:29]
	v_add_f64 v[44:45], v[44:45], v[92:93]
	v_fma_f64 v[46:47], v[28:29], s[16:17], -v[46:47]
	v_fmac_f64_e32 v[48:49], s[24:25], v[38:39]
	v_fma_f64 v[102:103], s[24:25], v[52:53], v[100:101]
	v_fma_f64 v[100:101], v[54:55], s[14:15], -v[80:81]
	v_add_f64 v[46:47], v[46:47], v[78:79]
	v_add_f64 v[44:45], v[48:49], v[44:45]
	v_fma_f64 v[48:49], v[36:37], s[24:25], -v[50:51]
	v_add_f64 v[12:13], v[100:101], v[12:13]
	v_mul_f64 v[100:101], v[8:9], s[28:29]
	v_add_f64 v[46:47], v[48:49], v[46:47]
	v_fmac_f64_e32 v[74:75], s[10:11], v[42:43]
	v_fma_f64 v[48:49], v[40:41], s[10:11], -v[76:77]
	v_add_f64 v[44:45], v[74:75], v[44:45]
	v_add_f64 v[46:47], v[48:49], v[46:47]
	v_fma_f64 v[48:49], v[52:53], s[14:15], -v[100:101]
	v_mul_f64 v[74:75], v[34:35], s[34:35]
	s_mov_b32 s21, 0x3fed1bb4
	v_add_f64 v[46:47], v[48:49], v[46:47]
	v_fma_f64 v[48:49], v[30:31], s[24:25], -v[74:75]
	v_mul_f64 v[76:77], v[26:27], s[20:21]
	v_add_f64 v[48:49], v[48:49], v[60:61]
	v_mul_f64 v[60:61], v[32:33], s[34:35]
	v_fma_f64 v[78:79], v[38:39], s[12:13], -v[76:77]
	v_fmac_f64_e32 v[80:81], s[14:15], v[54:55]
	v_fma_f64 v[50:51], s[24:25], v[28:29], v[60:61]
	v_add_f64 v[48:49], v[78:79], v[48:49]
	v_mul_f64 v[78:79], v[24:25], s[20:21]
	v_add_f64 v[44:45], v[80:81], v[44:45]
	v_add_f64 v[50:51], v[50:51], v[84:85]
	v_fma_f64 v[80:81], s[12:13], v[36:37], v[78:79]
	v_add_f64 v[50:51], v[80:81], v[50:51]
	v_mul_f64 v[80:81], v[18:19], s[4:5]
	v_fma_f64 v[84:85], v[42:43], s[14:15], -v[80:81]
	v_add_f64 v[48:49], v[84:85], v[48:49]
	v_mul_f64 v[84:85], v[16:17], s[4:5]
	v_fma_f64 v[92:93], s[14:15], v[40:41], v[84:85]
	v_add_f64 v[50:51], v[92:93], v[50:51]
	v_mul_f64 v[92:93], v[10:11], s[22:23]
	v_fmac_f64_e32 v[74:75], s[24:25], v[30:31]
	v_fma_f64 v[60:61], v[28:29], s[24:25], -v[60:61]
	v_add_f64 v[6:7], v[102:103], v[6:7]
	v_fma_f64 v[102:103], s[14:15], v[52:53], v[100:101]
	v_fma_f64 v[100:101], v[54:55], s[16:17], -v[92:93]
	v_add_f64 v[58:59], v[74:75], v[58:59]
	v_add_f64 v[60:61], v[60:61], v[82:83]
	v_fma_f64 v[74:75], v[36:37], s[12:13], -v[78:79]
	v_add_f64 v[48:49], v[100:101], v[48:49]
	v_mul_f64 v[100:101], v[8:9], s[22:23]
	v_fmac_f64_e32 v[76:77], s[12:13], v[38:39]
	v_add_f64 v[60:61], v[74:75], v[60:61]
	v_fma_f64 v[74:75], v[40:41], s[14:15], -v[84:85]
	v_add_f64 v[58:59], v[76:77], v[58:59]
	v_fmac_f64_e32 v[80:81], s[14:15], v[42:43]
	v_add_f64 v[60:61], v[74:75], v[60:61]
	v_fma_f64 v[74:75], v[52:53], s[16:17], -v[100:101]
	v_mul_f64 v[76:77], v[34:35], s[36:37]
	v_add_f64 v[58:59], v[80:81], v[58:59]
	v_add_f64 v[60:61], v[74:75], v[60:61]
	v_fma_f64 v[74:75], v[30:31], s[10:11], -v[76:77]
	v_mul_f64 v[80:81], v[26:27], s[4:5]
	v_add_f64 v[72:73], v[74:75], v[72:73]
	v_mul_f64 v[78:79], v[32:33], s[36:37]
	v_fma_f64 v[82:83], v[38:39], s[14:15], -v[80:81]
	v_fma_f64 v[74:75], s[10:11], v[28:29], v[78:79]
	v_add_f64 v[72:73], v[82:83], v[72:73]
	v_mul_f64 v[82:83], v[24:25], s[4:5]
	v_add_f64 v[74:75], v[74:75], v[88:89]
	v_fma_f64 v[84:85], s[14:15], v[36:37], v[82:83]
	v_add_f64 v[74:75], v[84:85], v[74:75]
	v_mul_f64 v[84:85], v[18:19], s[26:27]
	v_fma_f64 v[88:89], v[42:43], s[24:25], -v[84:85]
	v_fmac_f64_e32 v[92:93], s[16:17], v[54:55]
	v_add_f64 v[72:73], v[88:89], v[72:73]
	v_mul_f64 v[88:89], v[16:17], s[26:27]
	v_add_f64 v[58:59], v[92:93], v[58:59]
	v_fma_f64 v[92:93], s[24:25], v[40:41], v[88:89]
	v_fmac_f64_e32 v[76:77], s[10:11], v[30:31]
	v_add_f64 v[74:75], v[92:93], v[74:75]
	v_mul_f64 v[92:93], v[10:11], s[20:21]
	v_add_f64 v[62:63], v[76:77], v[62:63]
	v_fma_f64 v[76:77], v[28:29], s[10:11], -v[78:79]
	v_fmac_f64_e32 v[80:81], s[14:15], v[38:39]
	v_add_f64 v[14:15], v[102:103], v[14:15]
	v_fma_f64 v[102:103], s[16:17], v[52:53], v[100:101]
	v_fma_f64 v[100:101], v[54:55], s[12:13], -v[92:93]
	v_add_f64 v[76:77], v[76:77], v[86:87]
	v_add_f64 v[62:63], v[80:81], v[62:63]
	v_fma_f64 v[78:79], v[36:37], s[14:15], -v[82:83]
	v_fmac_f64_e32 v[84:85], s[24:25], v[42:43]
	v_add_f64 v[72:73], v[100:101], v[72:73]
	v_mul_f64 v[100:101], v[8:9], s[20:21]
	v_add_f64 v[76:77], v[78:79], v[76:77]
	v_add_f64 v[62:63], v[84:85], v[62:63]
	v_fma_f64 v[78:79], v[40:41], s[24:25], -v[88:89]
	v_fmac_f64_e32 v[92:93], s[12:13], v[54:55]
	v_add_f64 v[78:79], v[78:79], v[76:77]
	v_add_f64 v[76:77], v[92:93], v[62:63]
	v_fma_f64 v[62:63], v[52:53], s[12:13], -v[100:101]
	v_mul_f64 v[34:35], v[34:35], s[28:29]
	v_add_f64 v[78:79], v[62:63], v[78:79]
	v_fma_f64 v[62:63], v[30:31], s[14:15], -v[34:35]
	v_mul_f64 v[32:33], v[32:33], s[28:29]
	v_mul_f64 v[26:27], v[26:27], s[22:23]
	v_add_f64 v[62:63], v[62:63], v[94:95]
	v_fma_f64 v[80:81], s[14:15], v[28:29], v[32:33]
	v_fma_f64 v[82:83], v[38:39], s[16:17], -v[26:27]
	v_mul_f64 v[24:25], v[24:25], s[22:23]
	v_add_f64 v[80:81], v[80:81], v[90:91]
	v_add_f64 v[62:63], v[82:83], v[62:63]
	v_fma_f64 v[82:83], s[16:17], v[36:37], v[24:25]
	v_add_f64 v[80:81], v[82:83], v[80:81]
	v_mul_f64 v[82:83], v[18:19], s[20:21]
	v_fma_f64 v[18:19], v[42:43], s[12:13], -v[82:83]
	v_add_f64 v[18:19], v[18:19], v[62:63]
	v_mul_f64 v[62:63], v[16:17], s[20:21]
	v_fma_f64 v[16:17], s[12:13], v[40:41], v[62:63]
	v_mul_f64 v[10:11], v[10:11], s[18:19]
	v_mul_f64 v[84:85], v[8:9], s[18:19]
	v_add_f64 v[80:81], v[16:17], v[80:81]
	v_fma_f64 v[16:17], v[54:55], s[10:11], -v[10:11]
	v_fma_f64 v[8:9], s[10:11], v[52:53], v[84:85]
	v_fmac_f64_e32 v[34:35], s[14:15], v[30:31]
	v_add_f64 v[16:17], v[16:17], v[18:19]
	v_add_f64 v[18:19], v[8:9], v[80:81]
	;; [unrolled: 1-line block ×3, first 2 shown]
	v_fma_f64 v[28:29], v[28:29], s[14:15], -v[32:33]
	v_fmac_f64_e32 v[26:27], s[16:17], v[38:39]
	v_add_f64 v[28:29], v[28:29], v[98:99]
	v_add_f64 v[8:9], v[26:27], v[8:9]
	v_fma_f64 v[24:25], v[36:37], s[16:17], -v[24:25]
	v_fmac_f64_e32 v[82:83], s[12:13], v[42:43]
	v_add_f64 v[24:25], v[24:25], v[28:29]
	v_add_f64 v[8:9], v[82:83], v[8:9]
	;; [unrolled: 4-line block ×3, first 2 shown]
	v_fma_f64 v[10:11], v[52:53], s[10:11], -v[84:85]
	v_add_f64 v[50:51], v[102:103], v[50:51]
	v_fma_f64 v[102:103], s[12:13], v[52:53], v[100:101]
	v_add_f64 v[10:11], v[10:11], v[24:25]
	v_mad_u32_u24 v24, v68, s30, v69
	v_add_f64 v[74:75], v[102:103], v[74:75]
	s_waitcnt lgkmcnt(0)
	; wave barrier
	ds_write_b128 v24, v[0:3]
	ds_write_b128 v24, v[4:7] offset:16
	ds_write_b128 v24, v[12:15] offset:32
	;; [unrolled: 1-line block ×10, first 2 shown]
	s_waitcnt lgkmcnt(0)
	; wave barrier
	s_waitcnt lgkmcnt(0)
	ds_read_b128 v[0:3], v71
	ds_read_b128 v[12:15], v69 offset:512
	ds_read_b128 v[4:7], v69 offset:3328
	;; [unrolled: 1-line block ×9, first 2 shown]
	v_cmp_gt_u32_e32 vcc, 16, v68
                                        ; implicit-def: $vgpr42_vgpr43
	s_and_saveexec_b64 s[4:5], vcc
	s_cbranch_execz .LBB0_23
; %bb.22:
	ds_read_b128 v[20:23], v69 offset:2560
	ds_read_b128 v[40:43], v69 offset:5376
.LBB0_23:
	s_or_b64 exec, exec, s[4:5]
	s_movk_i32 s4, 0xff
	v_bitop3_b16 v52, v68, s4, 64 bitop3:0xc8
	v_mul_lo_u16_e32 v52, 0x75, v52
	v_or_b32_e32 v54, 64, v68
	v_sub_u16_sdwa v55, v54, v52 dst_sel:DWORD dst_unused:UNUSED_PAD src0_sel:DWORD src1_sel:BYTE_1
	v_lshrrev_b16_e32 v55, 1, v55
	v_and_b32_e32 v55, 0x7f, v55
	v_add_u16_sdwa v52, v55, v52 dst_sel:DWORD dst_unused:UNUSED_PAD src0_sel:DWORD src1_sel:BYTE_1
	v_lshrrev_b16_e32 v92, 3, v52
	v_mul_lo_u16_e32 v52, 11, v92
	v_mov_b32_e32 v53, 4
	v_sub_u16_e32 v52, v54, v52
	v_lshlrev_b32_sdwa v93, v53, v52 dst_sel:DWORD dst_unused:UNUSED_PAD src0_sel:DWORD src1_sel:BYTE_0
	v_mov_b32_e32 v52, 0x60
	v_bitop3_b16 v52, v68, s4, v52 bitop3:0xc8
	v_mul_lo_u16_e32 v52, 0x75, v52
	v_or_b32_e32 v54, 0x60, v68
	v_sub_u16_sdwa v55, v54, v52 dst_sel:DWORD dst_unused:UNUSED_PAD src0_sel:DWORD src1_sel:BYTE_1
	v_lshrrev_b16_e32 v55, 1, v55
	v_and_b32_e32 v55, 0x7f, v55
	v_add_u16_sdwa v52, v55, v52 dst_sel:DWORD dst_unused:UNUSED_PAD src0_sel:DWORD src1_sel:BYTE_1
	v_lshrrev_b16_e32 v94, 3, v52
	v_mul_lo_u16_e32 v52, 11, v94
	v_sub_u16_e32 v52, v54, v52
	s_movk_i32 s5, 0x75
	v_lshlrev_b32_sdwa v95, v53, v52 dst_sel:DWORD dst_unused:UNUSED_PAD src0_sel:DWORD src1_sel:BYTE_0
	v_mov_b32_e32 v52, 0x80
	v_mul_lo_u16_sdwa v48, v68, s5 dst_sel:DWORD dst_unused:UNUSED_PAD src0_sel:BYTE_0 src1_sel:DWORD
	v_bitop3_b16 v52, v68, s4, v52 bitop3:0xc8
	v_sub_u16_sdwa v49, v68, v48 dst_sel:DWORD dst_unused:UNUSED_PAD src0_sel:DWORD src1_sel:BYTE_1
	v_mul_lo_u16_e32 v52, 0x75, v52
	v_or_b32_e32 v54, 0x80, v68
	v_lshrrev_b16_e32 v49, 1, v49
	v_sub_u16_sdwa v55, v54, v52 dst_sel:DWORD dst_unused:UNUSED_PAD src0_sel:DWORD src1_sel:BYTE_1
	v_and_b32_e32 v49, 0x7f, v49
	v_lshrrev_b16_e32 v55, 1, v55
	v_add_u16_sdwa v48, v49, v48 dst_sel:DWORD dst_unused:UNUSED_PAD src0_sel:DWORD src1_sel:BYTE_1
	v_and_b32_e32 v55, 0x7f, v55
	v_lshrrev_b16_e32 v88, 3, v48
	v_add_u16_sdwa v52, v55, v52 dst_sel:DWORD dst_unused:UNUSED_PAD src0_sel:DWORD src1_sel:BYTE_1
	v_mul_lo_u16_e32 v48, 11, v88
	v_lshrrev_b16_e32 v96, 3, v52
	v_sub_u16_e32 v48, v68, v48
	v_mul_lo_u16_e32 v52, 11, v96
	v_lshlrev_b32_sdwa v89, v53, v48 dst_sel:DWORD dst_unused:UNUSED_PAD src0_sel:DWORD src1_sel:BYTE_0
	v_bitop3_b16 v48, v68, s4, 32 bitop3:0xc8
	v_sub_u16_e32 v52, v54, v52
	v_mul_lo_u16_e32 v48, 0x75, v48
	v_or_b32_e32 v49, 32, v68
	v_lshlrev_b32_sdwa v97, v53, v52 dst_sel:DWORD dst_unused:UNUSED_PAD src0_sel:DWORD src1_sel:BYTE_0
	v_mul_lo_u16_sdwa v52, v57, s5 dst_sel:DWORD dst_unused:UNUSED_PAD src0_sel:BYTE_0 src1_sel:DWORD
	v_sub_u16_sdwa v50, v49, v48 dst_sel:DWORD dst_unused:UNUSED_PAD src0_sel:DWORD src1_sel:BYTE_1
	v_sub_u16_sdwa v54, v57, v52 dst_sel:DWORD dst_unused:UNUSED_PAD src0_sel:DWORD src1_sel:BYTE_1
	v_lshrrev_b16_e32 v50, 1, v50
	v_lshrrev_b16_e32 v54, 1, v54
	v_and_b32_e32 v50, 0x7f, v50
	v_and_b32_e32 v54, 0x7f, v54
	v_add_u16_sdwa v48, v50, v48 dst_sel:DWORD dst_unused:UNUSED_PAD src0_sel:DWORD src1_sel:BYTE_1
	v_add_u16_sdwa v52, v54, v52 dst_sel:DWORD dst_unused:UNUSED_PAD src0_sel:DWORD src1_sel:BYTE_1
	v_lshrrev_b16_e32 v90, 3, v48
	v_lshrrev_b16_e32 v52, 3, v52
	v_mul_lo_u16_e32 v48, 11, v90
	v_mul_lo_u16_e32 v54, 11, v52
	v_sub_u16_e32 v48, v49, v48
	v_sub_u16_e32 v54, v57, v54
	v_lshlrev_b32_sdwa v91, v53, v48 dst_sel:DWORD dst_unused:UNUSED_PAD src0_sel:DWORD src1_sel:BYTE_0
	global_load_dwordx4 v[48:51], v89, s[8:9]
	global_load_dwordx4 v[58:61], v91, s[8:9]
	v_lshlrev_b32_sdwa v53, v53, v54 dst_sel:DWORD dst_unused:UNUSED_PAD src0_sel:DWORD src1_sel:BYTE_0
	global_load_dwordx4 v[72:75], v93, s[8:9]
	global_load_dwordx4 v[76:79], v95, s[8:9]
	;; [unrolled: 1-line block ×4, first 2 shown]
	s_movk_i32 s10, 0x160
	s_waitcnt lgkmcnt(0)
	; wave barrier
	s_waitcnt vmcnt(5) lgkmcnt(0)
	v_mul_f64 v[54:55], v[46:47], v[50:51]
	v_mul_f64 v[50:51], v[44:45], v[50:51]
	v_fmac_f64_e32 v[50:51], v[46:47], v[48:49]
	s_waitcnt vmcnt(4)
	v_mul_f64 v[46:47], v[6:7], v[60:61]
	v_fma_f64 v[44:45], v[44:45], v[48:49], -v[54:55]
	v_mul_f64 v[48:49], v[4:5], v[60:61]
	s_waitcnt vmcnt(3)
	v_mul_f64 v[54:55], v[18:19], v[74:75]
	v_mul_f64 v[60:61], v[16:17], v[74:75]
	v_fma_f64 v[46:47], v[4:5], v[58:59], -v[46:47]
	s_waitcnt vmcnt(0)
	v_mul_f64 v[4:5], v[42:43], v[86:87]
	v_fma_f64 v[54:55], v[16:17], v[72:73], -v[54:55]
	v_fmac_f64_e32 v[60:61], v[18:19], v[72:73]
	v_fma_f64 v[72:73], v[40:41], v[84:85], -v[4:5]
	v_fmac_f64_e32 v[48:49], v[6:7], v[58:59]
	v_add_f64 v[4:5], v[0:1], -v[44:45]
	v_add_f64 v[44:45], v[20:21], -v[72:73]
	;; [unrolled: 1-line block ×4, first 2 shown]
	v_fma_f64 v[48:49], v[20:21], 2.0, -v[44:45]
	v_mad_u32_u24 v20, v88, s10, 0
	v_fma_f64 v[0:1], v[0:1], 2.0, -v[4:5]
	v_fma_f64 v[2:3], v[2:3], 2.0, -v[6:7]
	v_add3_u32 v20, v20, v89, v56
	v_mul_f64 v[62:63], v[38:39], v[78:79]
	v_mul_f64 v[74:75], v[36:37], v[78:79]
	v_add_f64 v[16:17], v[12:13], -v[46:47]
	ds_write_b128 v20, v[0:3]
	ds_write_b128 v20, v[4:7] offset:176
	v_mad_u32_u24 v20, v90, s10, 0
	v_fma_f64 v[58:59], v[36:37], v[76:77], -v[62:63]
	v_fmac_f64_e32 v[74:75], v[38:39], v[76:77]
	v_fma_f64 v[36:37], v[12:13], 2.0, -v[16:17]
	v_fma_f64 v[38:39], v[14:15], 2.0, -v[18:19]
	v_add3_u32 v20, v20, v91, v56
	v_add_f64 v[12:13], v[8:9], -v[54:55]
	v_add_f64 v[14:15], v[10:11], -v[60:61]
	ds_write_b128 v20, v[36:39]
	ds_write_b128 v20, v[16:19] offset:176
	v_mad_u32_u24 v20, v92, s10, 0
	v_mul_f64 v[78:79], v[34:35], v[82:83]
	v_mul_f64 v[82:83], v[32:33], v[82:83]
	v_fma_f64 v[8:9], v[8:9], 2.0, -v[12:13]
	v_fma_f64 v[10:11], v[10:11], 2.0, -v[14:15]
	v_add3_u32 v20, v20, v93, v56
	v_fma_f64 v[62:63], v[32:33], v[80:81], -v[78:79]
	v_fmac_f64_e32 v[82:83], v[34:35], v[80:81]
	v_mul_f64 v[76:77], v[40:41], v[86:87]
	v_add_f64 v[32:33], v[28:29], -v[58:59]
	v_add_f64 v[34:35], v[30:31], -v[74:75]
	ds_write_b128 v20, v[8:11]
	ds_write_b128 v20, v[12:15] offset:176
	v_mad_u32_u24 v20, v94, s10, 0
	v_fmac_f64_e32 v[76:77], v[42:43], v[84:85]
	v_fma_f64 v[40:41], v[28:29], 2.0, -v[32:33]
	v_fma_f64 v[42:43], v[30:31], 2.0, -v[34:35]
	v_add3_u32 v20, v20, v95, v56
	v_add_f64 v[28:29], v[24:25], -v[62:63]
	v_add_f64 v[30:31], v[26:27], -v[82:83]
	v_add_f64 v[46:47], v[22:23], -v[76:77]
	ds_write_b128 v20, v[40:43]
	ds_write_b128 v20, v[32:35] offset:176
	v_mad_u32_u24 v20, v96, s10, 0
	v_fma_f64 v[24:25], v[24:25], 2.0, -v[28:29]
	v_fma_f64 v[26:27], v[26:27], 2.0, -v[30:31]
	;; [unrolled: 1-line block ×3, first 2 shown]
	v_add3_u32 v20, v20, v97, v56
	ds_write_b128 v20, v[24:27]
	ds_write_b128 v20, v[28:31] offset:176
	s_and_saveexec_b64 s[4:5], vcc
	s_cbranch_execz .LBB0_25
; %bb.24:
	v_mad_u32_u24 v20, v52, s10, 0
	v_add3_u32 v20, v20, v53, v56
	ds_write_b128 v20, v[48:51]
	ds_write_b128 v20, v[44:47] offset:176
.LBB0_25:
	s_or_b64 exec, exec, s[4:5]
	v_cmp_gt_u32_e32 vcc, 22, v68
	s_waitcnt lgkmcnt(0)
	; wave barrier
	s_waitcnt lgkmcnt(0)
                                        ; implicit-def: $vgpr22_vgpr23
                                        ; implicit-def: $vgpr54_vgpr55
                                        ; implicit-def: $vgpr62_vgpr63
                                        ; implicit-def: $vgpr58_vgpr59
	s_and_saveexec_b64 s[4:5], vcc
	s_cbranch_execz .LBB0_27
; %bb.26:
	ds_read_b128 v[0:3], v71
	ds_read_b128 v[4:7], v69 offset:352
	ds_read_b128 v[36:39], v69 offset:704
	;; [unrolled: 1-line block ×15, first 2 shown]
.LBB0_27:
	s_or_b64 exec, exec, s[4:5]
	s_waitcnt lgkmcnt(0)
	; wave barrier
	s_waitcnt lgkmcnt(0)
	s_and_saveexec_b64 s[4:5], vcc
	s_cbranch_execz .LBB0_29
; %bb.28:
	v_subrev_u32_e32 v72, 22, v68
	v_cndmask_b32_e32 v72, v72, v68, vcc
	v_mul_i32_i24_e32 v72, 15, v72
	v_mov_b32_e32 v73, 0
	v_lshl_add_u64 v[120:121], v[72:73], 4, s[8:9]
	global_load_dwordx4 v[72:75], v[120:121], off offset:192
	global_load_dwordx4 v[76:79], v[120:121], off offset:320
	;; [unrolled: 1-line block ×12, first 2 shown]
	s_mov_b32 s8, 0x667f3bcd
	s_mov_b32 s9, 0x3fe6a09e
	s_mov_b32 s11, 0xbfe6a09e
	s_mov_b32 s10, s8
	s_mov_b32 s16, 0xcf328d46
	s_mov_b32 s17, 0x3fed906b
	s_mov_b32 s12, 0xa6aea964
	s_mov_b32 s13, 0x3fd87de2
	s_mov_b32 s15, 0xbfd87de2
	s_mov_b32 s14, s12
	s_mov_b32 s19, 0xbfed906b
	s_mov_b32 s18, s16
	s_waitcnt vmcnt(11)
	v_mul_f64 v[122:123], v[38:39], v[74:75]
	v_mul_f64 v[124:125], v[36:37], v[74:75]
	v_fma_f64 v[122:123], v[36:37], v[72:73], -v[122:123]
	v_fmac_f64_e32 v[124:125], v[38:39], v[72:73]
	s_waitcnt vmcnt(10)
	v_mul_f64 v[72:73], v[50:51], v[78:79]
	v_mul_f64 v[78:79], v[48:49], v[78:79]
	global_load_dwordx4 v[36:39], v[120:121], off offset:368
	v_fma_f64 v[126:127], v[48:49], v[76:77], -v[72:73]
	v_fmac_f64_e32 v[78:79], v[50:51], v[76:77]
	global_load_dwordx4 v[48:51], v[120:121], off offset:272
	global_load_dwordx4 v[72:75], v[120:121], off offset:400
	s_waitcnt vmcnt(12)
	v_mul_f64 v[76:77], v[40:41], v[82:83]
	v_mul_f64 v[82:83], v[42:43], v[82:83]
	v_fmac_f64_e32 v[76:77], v[42:43], v[80:81]
	v_fma_f64 v[40:41], v[40:41], v[80:81], -v[82:83]
	s_waitcnt vmcnt(11)
	v_mul_f64 v[42:43], v[60:61], v[86:87]
	v_mul_f64 v[80:81], v[62:63], v[86:87]
	v_fmac_f64_e32 v[42:43], v[62:63], v[84:85]
	v_fma_f64 v[60:61], v[60:61], v[84:85], -v[80:81]
	s_waitcnt vmcnt(8)
	v_mul_f64 v[84:85], v[18:19], v[98:99]
	v_mul_f64 v[98:99], v[16:17], v[98:99]
	v_fma_f64 v[16:17], v[16:17], v[96:97], -v[84:85]
	v_fmac_f64_e32 v[98:99], v[18:19], v[96:97]
	s_waitcnt vmcnt(4)
	v_mul_f64 v[96:97], v[46:47], v[114:115]
	v_mul_f64 v[80:81], v[6:7], v[102:103]
	s_waitcnt vmcnt(3)
	v_mul_f64 v[18:19], v[30:31], v[118:119]
	v_mul_f64 v[114:115], v[44:45], v[114:115]
	v_fma_f64 v[44:45], v[44:45], v[112:113], -v[96:97]
	v_fmac_f64_e32 v[114:115], v[46:47], v[112:113]
	v_fma_f64 v[80:81], v[4:5], v[100:101], -v[80:81]
	v_mul_f64 v[84:85], v[12:13], v[110:111]
	v_fmac_f64_e32 v[84:85], v[14:15], v[108:109]
	v_mul_f64 v[82:83], v[10:11], v[90:91]
	v_mul_f64 v[62:63], v[24:25], v[106:107]
	;; [unrolled: 1-line block ×3, first 2 shown]
	v_fmac_f64_e32 v[62:63], v[26:27], v[104:105]
	v_add_f64 v[42:43], v[76:77], -v[42:43]
	v_add_f64 v[62:63], v[2:3], -v[62:63]
	;; [unrolled: 1-line block ×3, first 2 shown]
	s_waitcnt vmcnt(2)
	v_mul_f64 v[46:47], v[52:53], v[38:39]
	v_fmac_f64_e32 v[46:47], v[54:55], v[36:37]
	s_waitcnt vmcnt(1)
	v_mul_f64 v[96:97], v[32:33], v[50:51]
	v_mul_f64 v[50:51], v[34:35], v[50:51]
	s_waitcnt vmcnt(0)
	v_mul_f64 v[112:113], v[56:57], v[74:75]
	v_fmac_f64_e32 v[96:97], v[34:35], v[48:49]
	v_fma_f64 v[32:33], v[32:33], v[48:49], -v[50:51]
	v_mul_f64 v[34:35], v[58:59], v[74:75]
	v_mul_f64 v[48:49], v[4:5], v[102:103]
	v_fma_f64 v[4:5], v[28:29], v[116:117], -v[18:19]
	v_fmac_f64_e32 v[112:113], v[58:59], v[72:73]
	v_fma_f64 v[18:19], v[56:57], v[72:73], -v[34:35]
	v_add_f64 v[72:73], v[80:81], -v[4:5]
	v_mul_f64 v[4:5], v[28:29], v[118:119]
	v_fmac_f64_e32 v[48:49], v[6:7], v[100:101]
	v_fmac_f64_e32 v[4:5], v[30:31], v[116:117]
	v_add_f64 v[28:29], v[48:49], -v[4:5]
	v_mul_f64 v[4:5], v[14:15], v[110:111]
	v_fma_f64 v[14:15], v[12:13], v[108:109], -v[4:5]
	v_mul_f64 v[4:5], v[54:55], v[38:39]
	v_fma_f64 v[4:5], v[52:53], v[36:37], -v[4:5]
	v_add_f64 v[30:31], v[14:15], -v[4:5]
	v_mul_f64 v[4:5], v[26:27], v[106:107]
	v_fma_f64 v[4:5], v[24:25], v[104:105], -v[4:5]
	v_fma_f64 v[50:51], v[8:9], v[88:89], -v[82:83]
	v_add_f64 v[26:27], v[0:1], -v[4:5]
	v_mul_f64 v[8:9], v[8:9], v[90:91]
	v_mul_f64 v[4:5], v[20:21], v[94:95]
	v_fma_f64 v[74:75], v[20:21], v[92:93], -v[86:87]
	v_fmac_f64_e32 v[8:9], v[10:11], v[88:89]
	v_fmac_f64_e32 v[4:5], v[22:23], v[92:93]
	v_add_f64 v[34:35], v[122:123], -v[126:127]
	v_add_f64 v[56:57], v[124:125], -v[78:79]
	;; [unrolled: 1-line block ×10, first 2 shown]
	v_add_f64 v[86:87], v[56:57], v[58:59]
	v_add_f64 v[102:103], v[72:73], -v[46:47]
	v_add_f64 v[112:113], v[44:45], -v[74:75]
	v_add_f64 v[52:53], v[26:27], -v[20:21]
	v_fma_f64 v[22:23], v[40:41], 2.0, -v[58:59]
	v_fma_f64 v[58:59], v[2:3], 2.0, -v[62:63]
	;; [unrolled: 1-line block ×3, first 2 shown]
	v_add_f64 v[100:101], v[62:63], v[60:61]
	v_fma_f64 v[120:121], s[8:9], v[112:113], v[102:103]
	v_add_f64 v[126:127], v[78:79], v[18:19]
	v_add_f64 v[36:37], v[28:29], v[30:31]
	v_fma_f64 v[54:55], s[8:9], v[82:83], v[52:53]
	v_add_f64 v[8:9], v[58:59], -v[2:3]
	v_fma_f64 v[80:81], v[80:81], 2.0, -v[72:73]
	v_fma_f64 v[2:3], v[14:15], 2.0, -v[30:31]
	v_fma_f64 v[114:115], s[8:9], v[86:87], v[100:101]
	v_fmac_f64_e32 v[120:121], s[10:11], v[126:127]
	v_fma_f64 v[38:39], s[8:9], v[126:127], v[36:37]
	v_fmac_f64_e32 v[54:55], s[10:11], v[86:87]
	v_add_f64 v[92:93], v[80:81], -v[2:3]
	v_fma_f64 v[30:31], v[98:99], 2.0, -v[78:79]
	v_fma_f64 v[2:3], v[96:97], 2.0, -v[74:75]
	;; [unrolled: 1-line block ×4, first 2 shown]
	v_fmac_f64_e32 v[114:115], s[8:9], v[82:83]
	v_fmac_f64_e32 v[38:39], s[8:9], v[112:113]
	v_fma_f64 v[4:5], s[16:17], v[120:121], v[54:55]
	v_add_f64 v[74:75], v[30:31], -v[2:3]
	v_fma_f64 v[48:49], v[48:49], 2.0, -v[28:29]
	v_fma_f64 v[2:3], v[84:85], 2.0, -v[46:47]
	v_add_f64 v[50:51], v[98:99], -v[0:1]
	v_fma_f64 v[60:61], v[124:125], 2.0, -v[56:57]
	v_fma_f64 v[0:1], v[76:77], 2.0, -v[42:43]
	v_fma_f64 v[6:7], s[16:17], v[38:39], v[114:115]
	v_fmac_f64_e32 v[4:5], s[14:15], v[38:39]
	v_fma_f64 v[88:89], v[122:123], 2.0, -v[34:35]
	v_add_f64 v[46:47], v[48:49], -v[2:3]
	v_fma_f64 v[84:85], v[16:17], 2.0, -v[44:45]
	v_fma_f64 v[2:3], v[32:33], 2.0, -v[18:19]
	v_add_f64 v[42:43], v[60:61], -v[0:1]
	v_fma_f64 v[18:19], v[34:35], 2.0, -v[82:83]
	v_fma_f64 v[34:35], v[100:101], 2.0, -v[114:115]
	;; [unrolled: 1-line block ×3, first 2 shown]
	v_add_f64 v[32:33], v[84:85], -v[2:3]
	v_add_f64 v[76:77], v[50:51], -v[42:43]
	v_fma_f64 v[24:25], v[78:79], 2.0, -v[126:127]
	v_fma_f64 v[78:79], v[28:29], 2.0, -v[36:37]
	;; [unrolled: 1-line block ×6, first 2 shown]
	v_fma_f64 v[36:37], s[14:15], v[38:39], v[34:35]
	v_add_f64 v[40:41], v[88:89], -v[22:23]
	v_fma_f64 v[20:21], v[44:45], 2.0, -v[112:113]
	v_add_f64 v[60:61], v[58:59], -v[26:27]
	v_fma_f64 v[80:81], v[80:81], 2.0, -v[92:93]
	v_fma_f64 v[26:27], v[84:85], 2.0, -v[32:33]
	v_fmac_f64_e32 v[36:37], s[16:17], v[42:43]
	v_fma_f64 v[44:45], v[52:53], 2.0, -v[54:55]
	v_add_f64 v[90:91], v[8:9], v[40:41]
	v_add_f64 v[96:97], v[46:47], v[32:33]
	v_add_f64 v[84:85], v[80:81], -v[26:27]
	v_fma_f64 v[26:27], v[88:89], 2.0, -v[40:41]
	v_fma_f64 v[40:41], v[34:35], 2.0, -v[36:37]
	v_fma_f64 v[34:35], s[14:15], v[42:43], v[44:45]
	v_add_f64 v[94:95], v[92:93], -v[74:75]
	v_fma_f64 v[108:109], v[48:49], 2.0, -v[46:47]
	v_fmac_f64_e32 v[34:35], s[18:19], v[38:39]
	v_fma_f64 v[8:9], v[8:9], 2.0, -v[90:91]
	v_fma_f64 v[46:47], v[46:47], 2.0, -v[96:97]
	;; [unrolled: 1-line block ×4, first 2 shown]
	v_fma_f64 v[44:45], s[10:11], v[46:47], v[8:9]
	v_fmac_f64_e32 v[44:45], s[8:9], v[42:43]
	v_fma_f64 v[62:63], v[62:63], 2.0, -v[100:101]
	v_fma_f64 v[22:23], v[56:57], 2.0, -v[86:87]
	;; [unrolled: 1-line block ×4, first 2 shown]
	v_fma_f64 v[56:57], s[10:11], v[22:23], v[62:63]
	v_fma_f64 v[72:73], v[72:73], 2.0, -v[102:103]
	v_fma_f64 v[86:87], s[10:11], v[24:25], v[78:79]
	v_fma_f64 v[42:43], s[10:11], v[42:43], v[8:9]
	v_fmac_f64_e32 v[56:57], s[8:9], v[18:19]
	v_fma_f64 v[82:83], s[10:11], v[20:21], v[72:73]
	v_fmac_f64_e32 v[86:87], s[8:9], v[20:21]
	v_fmac_f64_e32 v[42:43], s[10:11], v[46:47]
	v_fma_f64 v[10:11], v[54:55], 2.0, -v[4:5]
	v_fmac_f64_e32 v[82:83], s[10:11], v[24:25]
	v_fma_f64 v[46:47], v[8:9], 2.0, -v[42:43]
	v_fma_f64 v[8:9], v[62:63], 2.0, -v[56:57]
	;; [unrolled: 1-line block ×3, first 2 shown]
	v_fma_f64 v[20:21], s[12:13], v[86:87], v[56:57]
	v_fma_f64 v[106:107], s[10:11], v[18:19], v[104:105]
	v_fma_f64 v[98:99], v[98:99], 2.0, -v[50:51]
	v_fma_f64 v[50:51], v[72:73], 2.0, -v[82:83]
	v_fma_f64 v[52:53], s[18:19], v[54:55], v[8:9]
	v_fmac_f64_e32 v[20:21], s[16:17], v[82:83]
	v_fmac_f64_e32 v[106:107], s[10:11], v[22:23]
	;; [unrolled: 1-line block ×3, first 2 shown]
	v_fma_f64 v[24:25], v[56:57], 2.0, -v[20:21]
	v_fma_f64 v[56:57], v[8:9], 2.0, -v[52:53]
	;; [unrolled: 1-line block ×3, first 2 shown]
	v_add_f64 v[88:89], v[98:99], -v[26:27]
	v_fma_f64 v[26:27], v[30:31], 2.0, -v[74:75]
	v_fma_f64 v[50:51], s[18:19], v[50:51], v[8:9]
	v_add_f64 v[74:75], v[108:109], -v[26:27]
	v_fmac_f64_e32 v[50:51], s[14:15], v[54:55]
	v_add_f64 v[28:29], v[60:61], v[84:85]
	v_fma_f64 v[54:55], v[8:9], 2.0, -v[50:51]
	v_fma_f64 v[8:9], v[58:59], 2.0, -v[60:61]
	;; [unrolled: 1-line block ×4, first 2 shown]
	v_add_f64 v[60:61], v[8:9], -v[58:59]
	v_add_f64 v[26:27], v[88:89], -v[74:75]
	v_fma_f64 v[74:75], v[8:9], 2.0, -v[60:61]
	v_fma_f64 v[8:9], v[98:99], 2.0, -v[88:89]
	;; [unrolled: 1-line block ×3, first 2 shown]
	v_fma_f64 v[2:3], s[8:9], v[96:97], v[90:91]
	v_fma_f64 v[0:1], s[8:9], v[94:95], v[76:77]
	v_fma_f64 v[18:19], s[12:13], v[82:83], v[106:107]
	v_add_f64 v[58:59], v[8:9], -v[58:59]
	v_fmac_f64_e32 v[6:7], s[12:13], v[120:121]
	v_fmac_f64_e32 v[2:3], s[8:9], v[94:95]
	;; [unrolled: 1-line block ×4, first 2 shown]
	v_fma_f64 v[72:73], v[8:9], 2.0, -v[58:59]
	v_fma_f64 v[12:13], v[114:115], 2.0, -v[6:7]
	;; [unrolled: 1-line block ×6, first 2 shown]
	ds_write_b128 v71, v[72:75]
	ds_write_b128 v69, v[54:57] offset:352
	ds_write_b128 v69, v[46:49] offset:704
	;; [unrolled: 1-line block ×15, first 2 shown]
.LBB0_29:
	s_or_b64 exec, exec, s[4:5]
	s_waitcnt lgkmcnt(0)
	; wave barrier
	s_waitcnt lgkmcnt(0)
	s_and_saveexec_b64 s[4:5], s[0:1]
	s_cbranch_execz .LBB0_31
; %bb.30:
	v_mul_lo_u32 v0, s3, v66
	v_mul_lo_u32 v1, s2, v67
	v_mad_u64_u32 v[4:5], s[0:1], s2, v66, 0
	v_lshl_add_u32 v12, v68, 4, v70
	v_add3_u32 v5, v5, v1, v0
	ds_read_b128 v[0:3], v12
	v_lshl_add_u64 v[4:5], v[4:5], 4, s[6:7]
	v_lshl_add_u64 v[8:9], v[64:65], 4, v[4:5]
	ds_read_b128 v[4:7], v12 offset:512
	v_mov_b32_e32 v69, 0
	v_lshl_add_u64 v[10:11], v[68:69], 4, v[8:9]
	s_waitcnt lgkmcnt(1)
	global_store_dwordx4 v[10:11], v[0:3], off
	s_nop 1
	v_add_u32_e32 v0, 32, v68
	v_mov_b32_e32 v1, v69
	v_lshl_add_u64 v[0:1], v[0:1], 4, v[8:9]
	s_waitcnt lgkmcnt(0)
	global_store_dwordx4 v[0:1], v[4:7], off
	ds_read_b128 v[0:3], v12 offset:1024
	s_nop 0
	v_add_u32_e32 v4, 64, v68
	v_mov_b32_e32 v5, v69
	v_lshl_add_u64 v[10:11], v[4:5], 4, v[8:9]
	ds_read_b128 v[4:7], v12 offset:1536
	s_waitcnt lgkmcnt(1)
	global_store_dwordx4 v[10:11], v[0:3], off
	s_nop 1
	v_add_u32_e32 v0, 0x60, v68
	v_mov_b32_e32 v1, v69
	v_lshl_add_u64 v[0:1], v[0:1], 4, v[8:9]
	s_waitcnt lgkmcnt(0)
	global_store_dwordx4 v[0:1], v[4:7], off
	ds_read_b128 v[0:3], v12 offset:2048
	s_nop 0
	v_add_u32_e32 v4, 0x80, v68
	v_mov_b32_e32 v5, v69
	v_lshl_add_u64 v[10:11], v[4:5], 4, v[8:9]
	ds_read_b128 v[4:7], v12 offset:2560
	;; [unrolled: 14-line block ×4, first 2 shown]
	s_waitcnt lgkmcnt(1)
	global_store_dwordx4 v[10:11], v[0:3], off
	ds_read_b128 v[0:3], v12 offset:5120
	v_add_u32_e32 v10, 0x120, v68
	v_mov_b32_e32 v11, v69
	v_lshl_add_u64 v[10:11], v[10:11], 4, v[8:9]
	v_add_u32_e32 v68, 0x140, v68
	s_waitcnt lgkmcnt(1)
	global_store_dwordx4 v[10:11], v[4:7], off
	s_nop 1
	v_lshl_add_u64 v[4:5], v[68:69], 4, v[8:9]
	s_waitcnt lgkmcnt(0)
	global_store_dwordx4 v[4:5], v[0:3], off
.LBB0_31:
	s_endpgm
	.section	.rodata,"a",@progbits
	.p2align	6, 0x0
	.amdhsa_kernel fft_rtc_fwd_len352_factors_11_2_16_wgs_64_tpt_32_dp_op_CI_CI_unitstride_sbrr_C2R_dirReg
		.amdhsa_group_segment_fixed_size 0
		.amdhsa_private_segment_fixed_size 0
		.amdhsa_kernarg_size 104
		.amdhsa_user_sgpr_count 2
		.amdhsa_user_sgpr_dispatch_ptr 0
		.amdhsa_user_sgpr_queue_ptr 0
		.amdhsa_user_sgpr_kernarg_segment_ptr 1
		.amdhsa_user_sgpr_dispatch_id 0
		.amdhsa_user_sgpr_kernarg_preload_length 0
		.amdhsa_user_sgpr_kernarg_preload_offset 0
		.amdhsa_user_sgpr_private_segment_size 0
		.amdhsa_uses_dynamic_stack 0
		.amdhsa_enable_private_segment 0
		.amdhsa_system_sgpr_workgroup_id_x 1
		.amdhsa_system_sgpr_workgroup_id_y 0
		.amdhsa_system_sgpr_workgroup_id_z 0
		.amdhsa_system_sgpr_workgroup_info 0
		.amdhsa_system_vgpr_workitem_id 0
		.amdhsa_next_free_vgpr 128
		.amdhsa_next_free_sgpr 38
		.amdhsa_accum_offset 128
		.amdhsa_reserve_vcc 1
		.amdhsa_float_round_mode_32 0
		.amdhsa_float_round_mode_16_64 0
		.amdhsa_float_denorm_mode_32 3
		.amdhsa_float_denorm_mode_16_64 3
		.amdhsa_dx10_clamp 1
		.amdhsa_ieee_mode 1
		.amdhsa_fp16_overflow 0
		.amdhsa_tg_split 0
		.amdhsa_exception_fp_ieee_invalid_op 0
		.amdhsa_exception_fp_denorm_src 0
		.amdhsa_exception_fp_ieee_div_zero 0
		.amdhsa_exception_fp_ieee_overflow 0
		.amdhsa_exception_fp_ieee_underflow 0
		.amdhsa_exception_fp_ieee_inexact 0
		.amdhsa_exception_int_div_zero 0
	.end_amdhsa_kernel
	.text
.Lfunc_end0:
	.size	fft_rtc_fwd_len352_factors_11_2_16_wgs_64_tpt_32_dp_op_CI_CI_unitstride_sbrr_C2R_dirReg, .Lfunc_end0-fft_rtc_fwd_len352_factors_11_2_16_wgs_64_tpt_32_dp_op_CI_CI_unitstride_sbrr_C2R_dirReg
                                        ; -- End function
	.section	.AMDGPU.csdata,"",@progbits
; Kernel info:
; codeLenInByte = 9140
; NumSgprs: 44
; NumVgprs: 128
; NumAgprs: 0
; TotalNumVgprs: 128
; ScratchSize: 0
; MemoryBound: 0
; FloatMode: 240
; IeeeMode: 1
; LDSByteSize: 0 bytes/workgroup (compile time only)
; SGPRBlocks: 5
; VGPRBlocks: 15
; NumSGPRsForWavesPerEU: 44
; NumVGPRsForWavesPerEU: 128
; AccumOffset: 128
; Occupancy: 4
; WaveLimiterHint : 1
; COMPUTE_PGM_RSRC2:SCRATCH_EN: 0
; COMPUTE_PGM_RSRC2:USER_SGPR: 2
; COMPUTE_PGM_RSRC2:TRAP_HANDLER: 0
; COMPUTE_PGM_RSRC2:TGID_X_EN: 1
; COMPUTE_PGM_RSRC2:TGID_Y_EN: 0
; COMPUTE_PGM_RSRC2:TGID_Z_EN: 0
; COMPUTE_PGM_RSRC2:TIDIG_COMP_CNT: 0
; COMPUTE_PGM_RSRC3_GFX90A:ACCUM_OFFSET: 31
; COMPUTE_PGM_RSRC3_GFX90A:TG_SPLIT: 0
	.text
	.p2alignl 6, 3212836864
	.fill 256, 4, 3212836864
	.type	__hip_cuid_5b8e9b3070703361,@object ; @__hip_cuid_5b8e9b3070703361
	.section	.bss,"aw",@nobits
	.globl	__hip_cuid_5b8e9b3070703361
__hip_cuid_5b8e9b3070703361:
	.byte	0                               ; 0x0
	.size	__hip_cuid_5b8e9b3070703361, 1

	.ident	"AMD clang version 19.0.0git (https://github.com/RadeonOpenCompute/llvm-project roc-6.4.0 25133 c7fe45cf4b819c5991fe208aaa96edf142730f1d)"
	.section	".note.GNU-stack","",@progbits
	.addrsig
	.addrsig_sym __hip_cuid_5b8e9b3070703361
	.amdgpu_metadata
---
amdhsa.kernels:
  - .agpr_count:     0
    .args:
      - .actual_access:  read_only
        .address_space:  global
        .offset:         0
        .size:           8
        .value_kind:     global_buffer
      - .offset:         8
        .size:           8
        .value_kind:     by_value
      - .actual_access:  read_only
        .address_space:  global
        .offset:         16
        .size:           8
        .value_kind:     global_buffer
      - .actual_access:  read_only
        .address_space:  global
        .offset:         24
        .size:           8
        .value_kind:     global_buffer
      - .actual_access:  read_only
        .address_space:  global
        .offset:         32
        .size:           8
        .value_kind:     global_buffer
      - .offset:         40
        .size:           8
        .value_kind:     by_value
      - .actual_access:  read_only
        .address_space:  global
        .offset:         48
        .size:           8
        .value_kind:     global_buffer
      - .actual_access:  read_only
        .address_space:  global
        .offset:         56
        .size:           8
        .value_kind:     global_buffer
      - .offset:         64
        .size:           4
        .value_kind:     by_value
      - .actual_access:  read_only
        .address_space:  global
        .offset:         72
        .size:           8
        .value_kind:     global_buffer
      - .actual_access:  read_only
        .address_space:  global
        .offset:         80
        .size:           8
        .value_kind:     global_buffer
      - .actual_access:  read_only
        .address_space:  global
        .offset:         88
        .size:           8
        .value_kind:     global_buffer
      - .actual_access:  write_only
        .address_space:  global
        .offset:         96
        .size:           8
        .value_kind:     global_buffer
    .group_segment_fixed_size: 0
    .kernarg_segment_align: 8
    .kernarg_segment_size: 104
    .language:       OpenCL C
    .language_version:
      - 2
      - 0
    .max_flat_workgroup_size: 64
    .name:           fft_rtc_fwd_len352_factors_11_2_16_wgs_64_tpt_32_dp_op_CI_CI_unitstride_sbrr_C2R_dirReg
    .private_segment_fixed_size: 0
    .sgpr_count:     44
    .sgpr_spill_count: 0
    .symbol:         fft_rtc_fwd_len352_factors_11_2_16_wgs_64_tpt_32_dp_op_CI_CI_unitstride_sbrr_C2R_dirReg.kd
    .uniform_work_group_size: 1
    .uses_dynamic_stack: false
    .vgpr_count:     128
    .vgpr_spill_count: 0
    .wavefront_size: 64
amdhsa.target:   amdgcn-amd-amdhsa--gfx950
amdhsa.version:
  - 1
  - 2
...

	.end_amdgpu_metadata
